;; amdgpu-corpus repo=ROCm/rocFFT kind=compiled arch=gfx906 opt=O3
	.text
	.amdgcn_target "amdgcn-amd-amdhsa--gfx906"
	.amdhsa_code_object_version 6
	.protected	bluestein_single_fwd_len980_dim1_sp_op_CI_CI ; -- Begin function bluestein_single_fwd_len980_dim1_sp_op_CI_CI
	.globl	bluestein_single_fwd_len980_dim1_sp_op_CI_CI
	.p2align	8
	.type	bluestein_single_fwd_len980_dim1_sp_op_CI_CI,@function
bluestein_single_fwd_len980_dim1_sp_op_CI_CI: ; @bluestein_single_fwd_len980_dim1_sp_op_CI_CI
; %bb.0:
	s_load_dwordx4 s[0:3], s[4:5], 0x28
	v_mul_u32_u24_e32 v1, 0x14f, v0
	v_add_u32_sdwa v44, s6, v1 dst_sel:DWORD dst_unused:UNUSED_PAD src0_sel:DWORD src1_sel:WORD_1
	v_mov_b32_e32 v45, 0
	s_waitcnt lgkmcnt(0)
	v_cmp_gt_u64_e32 vcc, s[0:1], v[44:45]
	s_and_saveexec_b64 s[0:1], vcc
	s_cbranch_execz .LBB0_31
; %bb.1:
	s_load_dwordx2 s[10:11], s[4:5], 0x0
	s_load_dwordx2 s[8:9], s[4:5], 0x38
	s_movk_i32 s0, 0xc4
	v_mul_lo_u16_sdwa v1, v1, s0 dst_sel:DWORD dst_unused:UNUSED_PAD src0_sel:WORD_1 src1_sel:DWORD
	v_sub_u16_e32 v50, v0, v1
	s_movk_i32 s0, 0x8c
	v_cmp_gt_u16_e64 s[0:1], s0, v50
	v_lshlrev_b32_e32 v49, 3, v50
	s_and_saveexec_b64 s[6:7], s[0:1]
	s_cbranch_execz .LBB0_3
; %bb.2:
	s_load_dwordx2 s[12:13], s[4:5], 0x18
	s_waitcnt lgkmcnt(0)
	v_mov_b32_e32 v14, s11
	s_load_dwordx4 s[12:15], s[12:13], 0x0
	s_waitcnt lgkmcnt(0)
	v_mad_u64_u32 v[0:1], s[16:17], s14, v44, 0
	v_mad_u64_u32 v[2:3], s[16:17], s12, v50, 0
	;; [unrolled: 1-line block ×4, first 2 shown]
	v_mov_b32_e32 v1, v4
	v_lshlrev_b64 v[0:1], 3, v[0:1]
	v_mov_b32_e32 v3, v5
	v_mov_b32_e32 v6, s3
	v_lshlrev_b64 v[2:3], 3, v[2:3]
	v_add_co_u32_e32 v0, vcc, s2, v0
	v_addc_co_u32_e32 v1, vcc, v6, v1, vcc
	v_add_co_u32_e32 v0, vcc, v0, v2
	s_mul_i32 s2, s13, 0x460
	s_mul_hi_u32 s3, s12, 0x460
	v_addc_co_u32_e32 v1, vcc, v1, v3, vcc
	s_add_i32 s2, s3, s2
	s_mul_i32 s3, s12, 0x460
	v_mov_b32_e32 v3, s2
	v_add_co_u32_e32 v2, vcc, s3, v0
	v_addc_co_u32_e32 v3, vcc, v1, v3, vcc
	v_add_co_u32_e32 v15, vcc, s10, v49
	s_movk_i32 s12, 0x1000
	v_addc_co_u32_e32 v16, vcc, 0, v14, vcc
	v_add_co_u32_e32 v14, vcc, s12, v15
	v_addc_co_u32_e32 v15, vcc, 0, v16, vcc
	global_load_dwordx2 v[4:5], v[0:1], off
	global_load_dwordx2 v[6:7], v[2:3], off
	v_mov_b32_e32 v18, s2
	v_add_co_u32_e32 v2, vcc, s3, v2
	v_addc_co_u32_e32 v3, vcc, v3, v18, vcc
	v_mov_b32_e32 v19, s2
	v_add_co_u32_e32 v18, vcc, s3, v2
	v_addc_co_u32_e32 v19, vcc, v3, v19, vcc
	global_load_dwordx2 v[0:1], v49, s[10:11]
	global_load_dwordx2 v[8:9], v49, s[10:11] offset:1120
	global_load_dwordx2 v[10:11], v49, s[10:11] offset:2240
	;; [unrolled: 1-line block ×3, first 2 shown]
	global_load_dwordx2 v[16:17], v[14:15], off offset:384
	global_load_dwordx2 v[20:21], v[2:3], off
	global_load_dwordx2 v[22:23], v[18:19], off
	v_mov_b32_e32 v3, s2
	v_add_co_u32_e32 v2, vcc, s3, v18
	v_addc_co_u32_e32 v3, vcc, v19, v3, vcc
	v_mov_b32_e32 v24, s2
	global_load_dwordx2 v[18:19], v[2:3], off
	v_add_co_u32_e32 v2, vcc, s3, v2
	v_addc_co_u32_e32 v3, vcc, v3, v24, vcc
	global_load_dwordx2 v[24:25], v[2:3], off
	global_load_dwordx2 v[26:27], v[14:15], off offset:1504
	v_mov_b32_e32 v28, s2
	v_add_co_u32_e32 v2, vcc, s3, v2
	v_addc_co_u32_e32 v3, vcc, v3, v28, vcc
	global_load_dwordx2 v[28:29], v[14:15], off offset:2624
	global_load_dwordx2 v[30:31], v[2:3], off
	v_add_u32_e32 v14, 0x800, v49
	v_add_u32_e32 v15, 0x1000, v49
	s_waitcnt vmcnt(11)
	v_mul_f32_e32 v2, v4, v1
	v_mul_f32_e32 v1, v5, v1
	v_fma_f32 v2, v5, v0, -v2
	v_fmac_f32_e32 v1, v4, v0
	s_waitcnt vmcnt(10)
	v_mul_f32_e32 v0, v6, v9
	v_mul_f32_e32 v3, v7, v9
	v_fma_f32 v4, v7, v8, -v0
	v_fmac_f32_e32 v3, v6, v8
	s_waitcnt vmcnt(6)
	v_mul_f32_e32 v5, v20, v11
	v_mul_f32_e32 v0, v21, v11
	ds_write2_b64 v49, v[1:2], v[3:4] offset1:140
	s_waitcnt vmcnt(5)
	v_mul_f32_e32 v2, v23, v13
	v_mul_f32_e32 v3, v22, v13
	v_fma_f32 v1, v21, v10, -v5
	v_fmac_f32_e32 v0, v20, v10
	v_fmac_f32_e32 v2, v22, v12
	v_fma_f32 v3, v23, v12, -v3
	s_waitcnt vmcnt(4)
	v_mul_f32_e32 v4, v19, v17
	v_mul_f32_e32 v5, v18, v17
	ds_write2_b64 v14, v[0:1], v[2:3] offset0:24 offset1:164
	s_waitcnt vmcnt(2)
	v_mul_f32_e32 v0, v25, v27
	v_mul_f32_e32 v1, v24, v27
	v_fmac_f32_e32 v4, v18, v16
	v_fma_f32 v5, v19, v16, -v5
	v_fmac_f32_e32 v0, v24, v26
	v_fma_f32 v1, v25, v26, -v1
	ds_write2_b64 v15, v[4:5], v[0:1] offset0:48 offset1:188
	s_waitcnt vmcnt(0)
	v_mul_f32_e32 v0, v31, v29
	v_mul_f32_e32 v1, v30, v29
	v_fmac_f32_e32 v0, v30, v28
	v_fma_f32 v1, v31, v28, -v1
	ds_write_b64 v49, v[0:1] offset:6720
.LBB0_3:
	s_or_b64 exec, exec, s[6:7]
	s_load_dwordx2 s[2:3], s[4:5], 0x20
	s_load_dwordx2 s[12:13], s[4:5], 0x8
	v_mov_b32_e32 v2, 0
	v_mov_b32_e32 v3, 0
	;; [unrolled: 1-line block ×8, first 2 shown]
	s_waitcnt lgkmcnt(0)
	s_barrier
	s_waitcnt lgkmcnt(0)
                                        ; implicit-def: $vgpr12
	s_and_saveexec_b64 s[4:5], s[0:1]
	s_cbranch_execz .LBB0_5
; %bb.4:
	v_add_u32_e32 v4, 0x800, v49
	v_add_u32_e32 v8, 0x1000, v49
	ds_read2_b64 v[0:3], v49 offset1:140
	ds_read2_b64 v[4:7], v4 offset0:24 offset1:164
	ds_read2_b64 v[8:11], v8 offset0:48 offset1:188
	ds_read_b64 v[12:13], v49 offset:6720
.LBB0_5:
	s_or_b64 exec, exec, s[4:5]
	s_waitcnt lgkmcnt(0)
	v_add_f32_e32 v14, v12, v2
	v_add_f32_e32 v15, v13, v3
	;; [unrolled: 1-line block ×4, first 2 shown]
	v_sub_f32_e32 v4, v4, v10
	v_sub_f32_e32 v5, v5, v11
	v_add_f32_e32 v10, v6, v8
	v_add_f32_e32 v11, v7, v9
	v_sub_f32_e32 v12, v2, v12
	v_sub_f32_e32 v13, v3, v13
	;; [unrolled: 1-line block ×4, first 2 shown]
	v_add_f32_e32 v8, v14, v16
	v_add_f32_e32 v9, v15, v17
	v_sub_f32_e32 v3, v17, v15
	v_sub_f32_e32 v18, v15, v11
	;; [unrolled: 1-line block ×6, first 2 shown]
	v_add_f32_e32 v17, v4, v6
	v_add_f32_e32 v19, v5, v7
	v_sub_f32_e32 v20, v6, v4
	v_sub_f32_e32 v21, v7, v5
	;; [unrolled: 1-line block ×3, first 2 shown]
	v_add_f32_e32 v26, v8, v10
	v_add_f32_e32 v27, v9, v11
	v_mul_f32_e32 v4, 0x3d64c772, v15
	v_sub_f32_e32 v22, v12, v6
	v_sub_f32_e32 v23, v13, v7
	;; [unrolled: 1-line block ×3, first 2 shown]
	v_add_f32_e32 v5, v12, v17
	v_add_f32_e32 v6, v13, v19
	;; [unrolled: 1-line block ×4, first 2 shown]
	v_mul_f32_e32 v12, 0x3f4a47b2, v14
	v_mul_f32_e32 v17, 0x3f4a47b2, v18
	;; [unrolled: 1-line block ×5, first 2 shown]
	v_mov_b32_e32 v16, v4
	s_mov_b32 s4, 0xbf3bfb3b
	v_mul_f32_e32 v11, 0x3f5ff5aa, v24
	v_mul_f32_e32 v10, 0x3f5ff5aa, v25
	v_mov_b32_e32 v8, v0
	v_mov_b32_e32 v15, v1
	v_fmac_f32_e32 v16, 0x3f4a47b2, v14
	v_mov_b32_e32 v19, v13
	v_fma_f32 v20, v2, s4, -v12
	v_fma_f32 v21, v3, s4, -v17
	v_mov_b32_e32 v12, v9
	v_mov_b32_e32 v14, v7
	s_mov_b32 s4, 0xbeae86e6
	v_fmac_f32_e32 v8, 0xbf955555, v26
	v_fmac_f32_e32 v15, 0xbf955555, v27
	;; [unrolled: 1-line block ×5, first 2 shown]
	v_fma_f32 v17, v22, s4, -v11
	v_fma_f32 v18, v23, s4, -v10
	v_add_f32_e32 v16, v16, v8
	v_add_f32_e32 v19, v19, v15
	;; [unrolled: 1-line block ×4, first 2 shown]
	v_fmac_f32_e32 v12, 0x3ee1c552, v5
	v_fmac_f32_e32 v14, 0x3ee1c552, v6
	;; [unrolled: 1-line block ×4, first 2 shown]
	v_sub_f32_e32 v22, v20, v18
	v_add_f32_e32 v23, v17, v21
	v_sub_f32_e32 v32, v16, v14
	v_add_f32_e32 v33, v12, v19
	v_mul_lo_u16_e32 v51, 7, v50
	s_barrier
	s_and_saveexec_b64 s[4:5], s[0:1]
	s_cbranch_execz .LBB0_7
; %bb.6:
	v_mul_f32_e32 v3, 0x3f3bfb3b, v3
	v_sub_f32_e32 v3, v3, v13
	v_mul_f32_e32 v2, 0x3f3bfb3b, v2
	v_mul_f32_e32 v5, 0x3ee1c552, v5
	;; [unrolled: 1-line block ×3, first 2 shown]
	v_add_f32_e32 v13, v3, v15
	v_sub_f32_e32 v3, v11, v9
	v_sub_f32_e32 v7, v10, v7
	;; [unrolled: 1-line block ×3, first 2 shown]
	v_add_f32_e32 v5, v3, v5
	v_add_f32_e32 v6, v7, v6
	;; [unrolled: 1-line block ×3, first 2 shown]
	v_sub_f32_e32 v9, v19, v12
	v_add_f32_e32 v8, v16, v14
	v_lshlrev_b32_e32 v10, 3, v51
	v_sub_f32_e32 v3, v13, v5
	v_add_f32_e32 v2, v4, v6
	v_add_f32_e32 v5, v5, v13
	v_sub_f32_e32 v4, v4, v6
	v_sub_f32_e32 v7, v21, v17
	v_add_f32_e32 v6, v20, v18
	ds_write2_b64 v10, v[0:1], v[8:9] offset1:1
	ds_write2_b64 v10, v[6:7], v[4:5] offset0:2 offset1:3
	ds_write2_b64 v10, v[2:3], v[22:23] offset0:4 offset1:5
	ds_write_b64 v10, v[32:33] offset:48
.LBB0_7:
	s_or_b64 exec, exec, s[4:5]
	v_mov_b32_e32 v0, 37
	v_mul_lo_u16_sdwa v0, v50, v0 dst_sel:DWORD dst_unused:UNUSED_PAD src0_sel:BYTE_0 src1_sel:DWORD
	v_sub_u16_sdwa v1, v50, v0 dst_sel:DWORD dst_unused:UNUSED_PAD src0_sel:DWORD src1_sel:BYTE_1
	v_lshrrev_b16_e32 v1, 1, v1
	v_and_b32_e32 v1, 0x7f, v1
	v_add_u16_sdwa v0, v1, v0 dst_sel:DWORD dst_unused:UNUSED_PAD src0_sel:DWORD src1_sel:BYTE_1
	v_lshrrev_b16_e32 v18, 2, v0
	v_mul_lo_u16_e32 v0, 7, v18
	v_sub_u16_e32 v0, v50, v0
	v_and_b32_e32 v19, 0xff, v0
	v_lshlrev_b32_e32 v8, 5, v19
	s_load_dwordx4 s[4:7], s[2:3], 0x0
	s_waitcnt lgkmcnt(0)
	s_barrier
	global_load_dwordx4 v[4:7], v8, s[12:13]
	global_load_dwordx4 v[0:3], v8, s[12:13] offset:16
	v_add_u32_e32 v8, 0xc00, v49
	ds_read2_b64 v[8:11], v8 offset0:8 offset1:204
	ds_read_b64 v[16:17], v49 offset:6272
	ds_read2_b64 v[12:15], v49 offset1:196
	s_waitcnt vmcnt(0) lgkmcnt(0)
	s_barrier
	v_mul_f32_e32 v20, v9, v7
	v_mul_f32_e32 v24, v8, v7
	;; [unrolled: 1-line block ×8, first 2 shown]
	v_fma_f32 v8, v8, v6, -v20
	v_fmac_f32_e32 v24, v9, v6
	v_fma_f32 v9, v10, v0, -v21
	v_fmac_f32_e32 v25, v11, v0
	;; [unrolled: 2-line block ×4, first 2 shown]
	v_add_f32_e32 v14, v8, v9
	v_add_f32_e32 v15, v24, v25
	;; [unrolled: 1-line block ×6, first 2 shown]
	v_sub_f32_e32 v29, v11, v8
	v_sub_f32_e32 v37, v10, v9
	;; [unrolled: 1-line block ×6, first 2 shown]
	v_fma_f32 v20, -0.5, v14, v12
	v_fma_f32 v21, -0.5, v15, v13
	;; [unrolled: 1-line block ×4, first 2 shown]
	v_sub_f32_e32 v35, v8, v11
	v_sub_f32_e32 v36, v8, v9
	;; [unrolled: 1-line block ×4, first 2 shown]
	v_add_f32_e32 v8, v26, v8
	v_add_f32_e32 v12, v27, v24
	;; [unrolled: 1-line block ×4, first 2 shown]
	v_mov_b32_e32 v26, v20
	v_mov_b32_e32 v28, v30
	;; [unrolled: 1-line block ×4, first 2 shown]
	v_sub_f32_e32 v38, v9, v10
	v_sub_f32_e32 v42, v34, v25
	v_add_f32_e32 v8, v8, v9
	v_fmac_f32_e32 v20, 0xbf737871, v39
	v_fmac_f32_e32 v30, 0x3f737871, v41
	;; [unrolled: 1-line block ×8, first 2 shown]
	v_add_f32_e32 v14, v35, v38
	v_add_f32_e32 v15, v40, v42
	;; [unrolled: 1-line block ×4, first 2 shown]
	v_fmac_f32_e32 v20, 0xbf167918, v41
	v_fmac_f32_e32 v30, 0xbf167918, v39
	;; [unrolled: 1-line block ×8, first 2 shown]
	v_mul_u32_u24_e32 v8, 35, v18
	v_add_f32_e32 v25, v9, v34
	v_fmac_f32_e32 v20, 0x3e9e377a, v13
	v_fmac_f32_e32 v30, 0x3e9e377a, v14
	;; [unrolled: 1-line block ×8, first 2 shown]
	v_add_lshl_u32 v54, v8, v19, 3
	ds_write2_b64 v54, v[24:25], v[26:27] offset1:7
	ds_write2_b64 v54, v[28:29], v[30:31] offset0:14 offset1:21
	ds_write_b64 v54, v[20:21] offset:224
	s_waitcnt lgkmcnt(0)
	s_barrier
	s_and_saveexec_b64 s[2:3], s[0:1]
	s_cbranch_execz .LBB0_9
; %bb.8:
	v_add_u32_e32 v8, 0x800, v49
	ds_read2_b64 v[28:31], v8 offset0:24 offset1:164
	v_add_u32_e32 v8, 0x1000, v49
	ds_read2_b64 v[24:27], v49 offset1:140
	ds_read2_b64 v[20:23], v8 offset0:48 offset1:188
	ds_read_b64 v[32:33], v49 offset:6720
.LBB0_9:
	s_or_b64 exec, exec, s[2:3]
	s_movk_i32 s2, 0xeb
	v_mul_lo_u16_sdwa v8, v50, s2 dst_sel:DWORD dst_unused:UNUSED_PAD src0_sel:BYTE_0 src1_sel:DWORD
	v_lshrrev_b16_e32 v52, 13, v8
	v_mul_lo_u16_e32 v8, 35, v52
	v_sub_u16_e32 v8, v50, v8
	v_and_b32_e32 v53, 0xff, v8
	v_mad_u64_u32 v[34:35], s[2:3], v53, 48, s[12:13]
	s_mov_b32 s2, 0x3f5ff5aa
	s_mov_b32 s3, 0x3f3bfb3b
	global_load_dwordx4 v[16:19], v[34:35], off offset:224
	global_load_dwordx4 v[12:15], v[34:35], off offset:240
	;; [unrolled: 1-line block ×3, first 2 shown]
	s_mov_b32 s14, 0xbf3bfb3b
	s_mov_b32 s15, 0xbeae86e6
	s_waitcnt vmcnt(0) lgkmcnt(0)
	s_barrier
	v_mul_f32_e32 v34, v27, v17
	v_mul_f32_e32 v35, v26, v17
	;; [unrolled: 1-line block ×12, first 2 shown]
	v_fma_f32 v28, v28, v18, -v36
	v_fmac_f32_e32 v37, v29, v18
	v_fmac_f32_e32 v41, v21, v14
	v_fma_f32 v21, v22, v8, -v42
	v_fmac_f32_e32 v43, v23, v8
	v_fma_f32 v22, v26, v16, -v34
	;; [unrolled: 2-line block ×5, first 2 shown]
	v_add_f32_e32 v26, v22, v23
	v_add_f32_e32 v27, v35, v46
	;; [unrolled: 1-line block ×4, first 2 shown]
	v_sub_f32_e32 v22, v22, v23
	v_sub_f32_e32 v23, v35, v46
	;; [unrolled: 1-line block ×4, first 2 shown]
	v_add_f32_e32 v32, v29, v20
	v_add_f32_e32 v33, v39, v41
	v_sub_f32_e32 v20, v20, v29
	v_sub_f32_e32 v29, v41, v39
	v_add_f32_e32 v34, v30, v26
	v_add_f32_e32 v35, v31, v27
	v_sub_f32_e32 v36, v30, v26
	v_sub_f32_e32 v37, v31, v27
	;; [unrolled: 1-line block ×6, first 2 shown]
	v_add_f32_e32 v39, v29, v28
	v_sub_f32_e32 v41, v29, v28
	v_sub_f32_e32 v28, v28, v23
	v_add_f32_e32 v32, v32, v34
	v_add_f32_e32 v33, v33, v35
	;; [unrolled: 1-line block ×3, first 2 shown]
	v_sub_f32_e32 v40, v20, v21
	v_sub_f32_e32 v42, v22, v20
	;; [unrolled: 1-line block ×4, first 2 shown]
	v_add_f32_e32 v46, v39, v23
	v_mul_f32_e32 v34, 0x3f4a47b2, v26
	v_mul_f32_e32 v35, 0x3f4a47b2, v27
	;; [unrolled: 1-line block ×5, first 2 shown]
	v_add_f32_e32 v20, v24, v32
	v_add_f32_e32 v21, v25, v33
	;; [unrolled: 1-line block ×3, first 2 shown]
	v_mul_f32_e32 v26, 0x3d64c772, v30
	v_mul_f32_e32 v22, 0xbf08b237, v40
	;; [unrolled: 1-line block ×3, first 2 shown]
	v_fma_f32 v41, v36, s14, -v34
	v_fmac_f32_e32 v34, 0x3d64c772, v30
	v_fma_f32 v30, v37, s3, -v27
	v_fma_f32 v25, v28, s2, -v23
	v_fmac_f32_e32 v23, 0x3eae86e6, v29
	v_fma_f32 v27, v29, s15, -v39
	v_mov_b32_e32 v28, v20
	v_mov_b32_e32 v29, v21
	v_fma_f32 v40, v36, s3, -v26
	v_fma_f32 v47, v37, s14, -v35
	v_fmac_f32_e32 v35, 0x3d64c772, v31
	v_fma_f32 v24, v43, s2, -v22
	v_fmac_f32_e32 v22, 0x3eae86e6, v42
	;; [unrolled: 2-line block ×3, first 2 shown]
	v_fmac_f32_e32 v29, 0xbf955555, v33
	v_add_f32_e32 v34, v34, v28
	v_add_f32_e32 v35, v35, v29
	;; [unrolled: 1-line block ×6, first 2 shown]
	v_fmac_f32_e32 v22, 0x3ee1c552, v45
	v_fmac_f32_e32 v23, 0x3ee1c552, v46
	;; [unrolled: 1-line block ×6, first 2 shown]
	v_add_f32_e32 v28, v25, v36
	v_sub_f32_e32 v29, v38, v24
	v_sub_f32_e32 v30, v37, v27
	v_add_f32_e32 v31, v26, v39
	v_sub_f32_e32 v32, v34, v23
	v_add_f32_e32 v33, v22, v35
	s_and_saveexec_b64 s[2:3], s[0:1]
	s_cbranch_execz .LBB0_11
; %bb.10:
	v_add_f32_e32 v41, v24, v38
	v_add_f32_e32 v24, v27, v37
	v_sub_f32_e32 v27, v35, v22
	v_mul_u32_u24_e32 v22, 0xf5, v52
	v_sub_f32_e32 v40, v36, v25
	v_sub_f32_e32 v25, v39, v26
	v_add_f32_e32 v26, v23, v34
	v_add_lshl_u32 v22, v22, v53, 3
	ds_write2_b64 v22, v[20:21], v[26:27] offset1:35
	ds_write2_b64 v22, v[24:25], v[40:41] offset0:70 offset1:105
	ds_write2_b64 v22, v[28:29], v[30:31] offset0:140 offset1:175
	ds_write_b64 v22, v[32:33] offset:1680
.LBB0_11:
	s_or_b64 exec, exec, s[2:3]
	v_add_u32_e32 v55, 0xf00, v49
	s_waitcnt lgkmcnt(0)
	s_barrier
	ds_read2_b64 v[36:39], v49 offset1:245
	ds_read2_b64 v[20:23], v55 offset0:10 offset1:255
	v_cmp_gt_u16_e64 s[2:3], 49, v50
	s_and_saveexec_b64 s[14:15], s[2:3]
	s_cbranch_execz .LBB0_13
; %bb.12:
	v_add_u32_e32 v24, 0x600, v49
	ds_read2_b64 v[28:31], v24 offset0:4 offset1:249
	v_add_u32_e32 v24, 0x1540, v49
	ds_read2_b64 v[32:35], v24 offset0:6 offset1:251
.LBB0_13:
	s_or_b64 exec, exec, s[14:15]
	v_mad_u64_u32 v[40:41], s[14:15], v50, 24, s[12:13]
	v_add_u32_e32 v42, 0xc4, v50
	global_load_dwordx2 v[47:48], v[40:41], off offset:1920
	global_load_dwordx4 v[24:27], v[40:41], off offset:1904
	s_waitcnt vmcnt(1) lgkmcnt(0)
	v_mul_f32_e32 v58, v22, v48
	s_waitcnt vmcnt(0)
	v_mul_f32_e32 v40, v39, v25
	v_fma_f32 v40, v38, v24, -v40
	v_mul_f32_e32 v41, v38, v25
	v_mul_f32_e32 v38, v21, v27
	v_fma_f32 v43, v20, v26, -v38
	v_mul_f32_e32 v56, v20, v27
	v_mul_f32_e32 v20, v23, v48
	v_fma_f32 v57, v22, v47, -v20
	v_subrev_u32_e32 v20, 49, v50
	v_cndmask_b32_e64 v20, v20, v42, s[2:3]
	v_fmac_f32_e32 v56, v21, v26
	v_mul_hi_i32_i24_e32 v21, 24, v20
	v_mul_i32_i24_e32 v20, 24, v20
	v_add_co_u32_e32 v38, vcc, s12, v20
	v_mov_b32_e32 v20, s13
	v_fmac_f32_e32 v41, v39, v24
	v_addc_co_u32_e32 v39, vcc, v20, v21, vcc
	v_fmac_f32_e32 v58, v23, v47
	global_load_dwordx2 v[45:46], v[38:39], off offset:1920
	global_load_dwordx4 v[20:23], v[38:39], off offset:1904
	v_sub_f32_e32 v39, v40, v57
	s_waitcnt vmcnt(1)
	v_mul_f32_e32 v61, v34, v46
	s_waitcnt vmcnt(0)
	v_mul_f32_e32 v38, v31, v21
	v_fma_f32 v42, v30, v20, -v38
	v_mul_f32_e32 v30, v30, v21
	v_fmac_f32_e32 v30, v31, v20
	v_mul_f32_e32 v31, v33, v23
	v_fma_f32 v31, v32, v22, -v31
	v_mul_f32_e32 v59, v32, v23
	v_mul_f32_e32 v32, v35, v46
	v_fma_f32 v60, v34, v45, -v32
	v_fmac_f32_e32 v59, v33, v22
	v_fmac_f32_e32 v61, v35, v45
	v_sub_f32_e32 v34, v36, v43
	v_sub_f32_e32 v43, v28, v31
	;; [unrolled: 1-line block ×6, first 2 shown]
	v_fma_f32 v31, v28, 2.0, -v43
	v_sub_f32_e32 v58, v30, v61
	v_fma_f32 v28, v42, 2.0, -v57
	v_fma_f32 v32, v36, 2.0, -v34
	;; [unrolled: 1-line block ×7, first 2 shown]
	v_sub_f32_e32 v28, v31, v28
	v_sub_f32_e32 v36, v32, v36
	;; [unrolled: 1-line block ×4, first 2 shown]
	v_add_f32_e32 v39, v35, v39
	v_sub_f32_e32 v29, v41, v29
	v_fma_f32 v40, v31, 2.0, -v28
	v_sub_f32_e32 v30, v43, v58
	v_add_f32_e32 v31, v56, v57
	v_fma_f32 v32, v32, 2.0, -v36
	v_fma_f32 v33, v33, 2.0, -v37
	;; [unrolled: 1-line block ×7, first 2 shown]
	ds_write2_b64 v49, v[32:33], v[34:35] offset1:245
	ds_write2_b64 v55, v[36:37], v[38:39] offset0:10 offset1:255
	s_and_saveexec_b64 s[12:13], s[2:3]
	s_cbranch_execz .LBB0_15
; %bb.14:
	v_add_u32_e32 v55, 0x600, v49
	ds_write2_b64 v55, v[40:41], v[42:43] offset0:4 offset1:249
	v_add_u32_e32 v55, 0x1540, v49
	ds_write2_b64 v55, v[28:29], v[30:31] offset0:6 offset1:251
.LBB0_15:
	s_or_b64 exec, exec, s[12:13]
	s_waitcnt lgkmcnt(0)
	s_barrier
	s_and_saveexec_b64 s[12:13], s[0:1]
	s_cbranch_execz .LBB0_17
; %bb.16:
	v_add_co_u32_e32 v65, vcc, s10, v49
	v_mov_b32_e32 v55, s11
	v_addc_co_u32_e32 v66, vcc, 0, v55, vcc
	v_add_co_u32_e32 v59, vcc, 0x1ea0, v65
	v_addc_co_u32_e32 v60, vcc, 0, v66, vcc
	v_add_co_u32_e32 v57, vcc, 0x1000, v65
	v_addc_co_u32_e32 v58, vcc, 0, v66, vcc
	global_load_dwordx2 v[57:58], v[57:58], off offset:3744
	ds_read_b64 v[55:56], v49
	v_add_u32_e32 v67, 0x400, v49
	s_movk_i32 s14, 0x3000
	s_waitcnt vmcnt(0) lgkmcnt(0)
	v_mul_f32_e32 v61, v56, v58
	v_mul_f32_e32 v62, v55, v58
	v_fma_f32 v61, v55, v57, -v61
	v_fmac_f32_e32 v62, v56, v57
	ds_write_b64 v49, v[61:62]
	global_load_dwordx2 v[61:62], v[59:60], off offset:1120
	ds_read2_b64 v[55:58], v67 offset0:12 offset1:152
	s_waitcnt vmcnt(0) lgkmcnt(0)
	v_mul_f32_e32 v63, v56, v62
	v_mul_f32_e32 v64, v55, v62
	v_fma_f32 v63, v55, v61, -v63
	v_fmac_f32_e32 v64, v56, v61
	global_load_dwordx2 v[55:56], v[59:60], off offset:2240
	s_waitcnt vmcnt(0)
	v_mul_f32_e32 v61, v58, v56
	global_load_dwordx2 v[59:60], v[59:60], off offset:3360
	v_mul_f32_e32 v62, v57, v56
	v_fma_f32 v61, v57, v55, -v61
	v_fmac_f32_e32 v62, v58, v55
	ds_write2_b64 v67, v[63:64], v[61:62] offset0:12 offset1:152
	v_add_u32_e32 v67, 0xc00, v49
	ds_read2_b64 v[55:58], v67 offset0:36 offset1:176
	s_waitcnt vmcnt(0) lgkmcnt(0)
	v_mul_f32_e32 v61, v56, v60
	v_mul_f32_e32 v62, v55, v60
	v_fma_f32 v61, v55, v59, -v61
	v_fmac_f32_e32 v62, v56, v59
	v_add_co_u32_e32 v59, vcc, s14, v65
	v_addc_co_u32_e32 v60, vcc, 0, v66, vcc
	global_load_dwordx2 v[55:56], v[59:60], off offset:32
	v_add_u32_e32 v65, 0x1400, v49
	s_waitcnt vmcnt(0)
	v_mul_f32_e32 v63, v58, v56
	v_mul_f32_e32 v64, v57, v56
	v_fma_f32 v63, v57, v55, -v63
	v_fmac_f32_e32 v64, v58, v55
	ds_write2_b64 v67, v[61:62], v[63:64] offset0:36 offset1:176
	global_load_dwordx2 v[61:62], v[59:60], off offset:1152
	ds_read2_b64 v[55:58], v65 offset0:60 offset1:200
	s_waitcnt vmcnt(0) lgkmcnt(0)
	v_mul_f32_e32 v63, v56, v62
	v_mul_f32_e32 v64, v55, v62
	v_fma_f32 v63, v55, v61, -v63
	v_fmac_f32_e32 v64, v56, v61
	global_load_dwordx2 v[55:56], v[59:60], off offset:2272
	s_waitcnt vmcnt(0)
	v_mul_f32_e32 v59, v58, v56
	v_mul_f32_e32 v60, v57, v56
	v_fma_f32 v59, v57, v55, -v59
	v_fmac_f32_e32 v60, v58, v55
	ds_write2_b64 v65, v[63:64], v[59:60] offset0:60 offset1:200
.LBB0_17:
	s_or_b64 exec, exec, s[12:13]
	s_waitcnt lgkmcnt(0)
	s_barrier
	s_and_saveexec_b64 s[12:13], s[0:1]
	s_cbranch_execz .LBB0_19
; %bb.18:
	v_add_u32_e32 v28, 0x800, v49
	ds_read2_b64 v[36:39], v28 offset0:24 offset1:164
	v_add_u32_e32 v28, 0x1000, v49
	ds_read2_b64 v[32:35], v49 offset1:140
	ds_read2_b64 v[40:43], v28 offset0:48 offset1:188
	ds_read_b64 v[28:29], v49 offset:6720
.LBB0_19:
	s_or_b64 exec, exec, s[12:13]
	s_waitcnt lgkmcnt(0)
	v_add_f32_e32 v55, v28, v34
	v_add_f32_e32 v56, v29, v35
	v_sub_f32_e32 v28, v34, v28
	v_sub_f32_e32 v29, v35, v29
	v_add_f32_e32 v34, v42, v36
	v_add_f32_e32 v35, v43, v37
	;; [unrolled: 1-line block ×6, first 2 shown]
	v_sub_f32_e32 v42, v36, v42
	v_sub_f32_e32 v43, v37, v43
	;; [unrolled: 1-line block ×7, first 2 shown]
	v_add_f32_e32 v59, v57, v59
	v_add_f32_e32 v58, v58, v60
	v_sub_f32_e32 v36, v34, v55
	v_sub_f32_e32 v55, v55, v57
	;; [unrolled: 1-line block ×3, first 2 shown]
	v_add_f32_e32 v34, v40, v42
	v_add_f32_e32 v35, v41, v43
	v_sub_f32_e32 v61, v40, v42
	v_sub_f32_e32 v62, v41, v43
	;; [unrolled: 1-line block ×4, first 2 shown]
	v_add_f32_e32 v32, v32, v59
	v_add_f32_e32 v33, v33, v58
	v_sub_f32_e32 v63, v28, v40
	v_sub_f32_e32 v65, v43, v29
	v_add_f32_e32 v42, v34, v28
	v_add_f32_e32 v43, v35, v29
	v_mul_f32_e32 v28, 0x3f4a47b2, v55
	v_mul_f32_e32 v29, 0x3f4a47b2, v56
	v_mul_f32_e32 v55, 0x3f08b237, v61
	v_mul_f32_e32 v40, 0x3f08b237, v62
	v_mul_f32_e32 v57, 0xbf5ff5aa, v41
	v_mov_b32_e32 v41, v32
	v_mov_b32_e32 v60, v33
	s_mov_b32 s12, 0xbf3bfb3b
	v_mul_f32_e32 v56, 0xbf5ff5aa, v65
	v_fmac_f32_e32 v41, 0xbf955555, v59
	v_fmac_f32_e32 v60, 0xbf955555, v58
	v_fma_f32 v34, v36, s12, -v28
	v_fma_f32 v35, v37, s12, -v29
	v_mov_b32_e32 v58, v55
	v_mov_b32_e32 v59, v40
	s_mov_b32 s12, 0x3eae86e6
	v_fmac_f32_e32 v28, 0x3d64c772, v38
	v_fmac_f32_e32 v29, 0x3d64c772, v39
	;; [unrolled: 1-line block ×4, first 2 shown]
	v_fma_f32 v62, v63, s12, -v57
	v_fma_f32 v63, v64, s12, -v56
	v_add_f32_e32 v61, v28, v41
	v_add_f32_e32 v64, v29, v60
	;; [unrolled: 1-line block ×4, first 2 shown]
	v_fmac_f32_e32 v58, 0xbee1c552, v42
	v_fmac_f32_e32 v59, 0xbee1c552, v43
	;; [unrolled: 1-line block ×4, first 2 shown]
	v_sub_f32_e32 v34, v65, v63
	v_add_f32_e32 v35, v62, v66
	v_sub_f32_e32 v28, v61, v59
	v_add_f32_e32 v29, v58, v64
	s_barrier
	s_and_saveexec_b64 s[12:13], s[0:1]
	s_cbranch_execz .LBB0_21
; %bb.20:
	v_mul_f32_e32 v39, 0x3d64c772, v39
	v_mul_f32_e32 v37, 0x3f3bfb3b, v37
	v_sub_f32_e32 v37, v37, v39
	v_mul_f32_e32 v38, 0x3d64c772, v38
	v_mul_f32_e32 v36, 0x3f3bfb3b, v36
	;; [unrolled: 1-line block ×3, first 2 shown]
	v_add_f32_e32 v39, v37, v60
	v_sub_f32_e32 v37, v57, v55
	v_mul_f32_e32 v43, 0xbee1c552, v43
	v_add_f32_e32 v42, v42, v37
	v_sub_f32_e32 v40, v56, v40
	v_sub_f32_e32 v36, v36, v38
	v_sub_f32_e32 v37, v39, v42
	v_add_f32_e32 v40, v43, v40
	v_add_f32_e32 v38, v36, v41
	;; [unrolled: 1-line block ×3, first 2 shown]
	v_sub_f32_e32 v43, v64, v58
	v_add_f32_e32 v42, v61, v59
	v_lshlrev_b32_e32 v51, 3, v51
	v_add_f32_e32 v36, v40, v38
	v_sub_f32_e32 v38, v38, v40
	v_sub_f32_e32 v41, v66, v62
	v_add_f32_e32 v40, v63, v65
	ds_write2_b64 v51, v[32:33], v[42:43] offset1:1
	ds_write2_b64 v51, v[40:41], v[38:39] offset0:2 offset1:3
	ds_write2_b64 v51, v[36:37], v[34:35] offset0:4 offset1:5
	ds_write_b64 v51, v[28:29] offset:48
.LBB0_21:
	s_or_b64 exec, exec, s[12:13]
	s_waitcnt lgkmcnt(0)
	s_barrier
	ds_read2_b64 v[36:39], v49 offset1:196
	v_add_u32_e32 v32, 0xc00, v49
	ds_read2_b64 v[40:43], v32 offset0:8 offset1:204
	ds_read_b64 v[32:33], v49 offset:6272
	s_waitcnt lgkmcnt(0)
	s_barrier
	v_mul_f32_e32 v51, v5, v39
	v_mul_f32_e32 v5, v5, v38
	v_fmac_f32_e32 v51, v4, v38
	v_fma_f32 v38, v4, v39, -v5
	v_mul_f32_e32 v5, v7, v41
	v_mul_f32_e32 v4, v7, v40
	;; [unrolled: 1-line block ×3, first 2 shown]
	v_fmac_f32_e32 v5, v6, v40
	v_fmac_f32_e32 v7, v0, v42
	v_mul_f32_e32 v1, v1, v42
	v_fma_f32 v39, v6, v41, -v4
	v_fma_f32 v40, v0, v43, -v1
	v_mul_f32_e32 v41, v3, v33
	v_mul_f32_e32 v0, v3, v32
	v_add_f32_e32 v1, v5, v7
	v_fmac_f32_e32 v41, v2, v32
	v_fma_f32 v42, v2, v33, -v0
	v_fma_f32 v32, -0.5, v1, v36
	v_sub_f32_e32 v1, v38, v42
	v_mov_b32_e32 v2, v32
	v_fmac_f32_e32 v2, 0xbf737871, v1
	v_sub_f32_e32 v3, v39, v40
	v_sub_f32_e32 v4, v51, v5
	v_sub_f32_e32 v6, v41, v7
	v_fmac_f32_e32 v32, 0x3f737871, v1
	v_fmac_f32_e32 v2, 0xbf167918, v3
	v_add_f32_e32 v4, v4, v6
	v_fmac_f32_e32 v32, 0x3f167918, v3
	v_fmac_f32_e32 v2, 0x3e9e377a, v4
	;; [unrolled: 1-line block ×3, first 2 shown]
	v_add_f32_e32 v4, v51, v41
	v_fma_f32 v6, -0.5, v4, v36
	v_mov_b32_e32 v4, v6
	v_add_f32_e32 v0, v36, v51
	v_fmac_f32_e32 v4, 0x3f737871, v3
	v_sub_f32_e32 v33, v5, v51
	v_sub_f32_e32 v36, v7, v41
	v_fmac_f32_e32 v6, 0xbf737871, v3
	v_fmac_f32_e32 v4, 0xbf167918, v1
	v_add_f32_e32 v33, v33, v36
	v_fmac_f32_e32 v6, 0x3f167918, v1
	v_add_f32_e32 v3, v39, v40
	v_add_f32_e32 v0, v0, v5
	v_fmac_f32_e32 v4, 0x3e9e377a, v33
	v_fmac_f32_e32 v6, 0x3e9e377a, v33
	v_fma_f32 v33, -0.5, v3, v37
	v_add_f32_e32 v0, v0, v7
	v_sub_f32_e32 v36, v51, v41
	v_mov_b32_e32 v3, v33
	v_add_f32_e32 v0, v0, v41
	v_fmac_f32_e32 v3, 0x3f737871, v36
	v_sub_f32_e32 v41, v5, v7
	v_sub_f32_e32 v5, v38, v39
	;; [unrolled: 1-line block ×3, first 2 shown]
	v_fmac_f32_e32 v33, 0xbf737871, v36
	v_fmac_f32_e32 v3, 0x3f167918, v41
	v_add_f32_e32 v5, v5, v7
	v_fmac_f32_e32 v33, 0xbf167918, v41
	v_fmac_f32_e32 v3, 0x3e9e377a, v5
	;; [unrolled: 1-line block ×3, first 2 shown]
	v_add_f32_e32 v5, v38, v42
	v_fma_f32 v7, -0.5, v5, v37
	v_add_f32_e32 v1, v37, v38
	v_mov_b32_e32 v5, v7
	v_add_f32_e32 v1, v1, v39
	v_fmac_f32_e32 v5, 0xbf737871, v41
	v_sub_f32_e32 v37, v39, v38
	v_sub_f32_e32 v38, v40, v42
	v_fmac_f32_e32 v7, 0x3f737871, v41
	v_add_f32_e32 v1, v1, v40
	v_fmac_f32_e32 v5, 0x3f167918, v36
	v_add_f32_e32 v37, v37, v38
	;; [unrolled: 2-line block ×3, first 2 shown]
	v_fmac_f32_e32 v5, 0x3e9e377a, v37
	v_fmac_f32_e32 v7, 0x3e9e377a, v37
	ds_write2_b64 v54, v[0:1], v[2:3] offset1:7
	ds_write2_b64 v54, v[4:5], v[6:7] offset0:14 offset1:21
	ds_write_b64 v54, v[32:33] offset:224
	s_waitcnt lgkmcnt(0)
	s_barrier
	s_and_saveexec_b64 s[12:13], s[0:1]
	s_cbranch_execz .LBB0_23
; %bb.22:
	v_add_u32_e32 v4, 0x800, v49
	v_add_u32_e32 v28, 0x1000, v49
	ds_read2_b64 v[0:3], v49 offset1:140
	ds_read2_b64 v[4:7], v4 offset0:24 offset1:164
	ds_read2_b64 v[32:35], v28 offset0:48 offset1:188
	ds_read_b64 v[28:29], v49 offset:6720
.LBB0_23:
	s_or_b64 exec, exec, s[12:13]
	s_waitcnt lgkmcnt(3)
	v_mul_f32_e32 v36, v17, v3
	v_fmac_f32_e32 v36, v16, v2
	v_mul_f32_e32 v2, v17, v2
	v_fma_f32 v2, v16, v3, -v2
	s_waitcnt lgkmcnt(2)
	v_mul_f32_e32 v3, v19, v5
	v_fmac_f32_e32 v3, v18, v4
	v_mul_f32_e32 v4, v19, v4
	v_fma_f32 v4, v18, v5, -v4
	v_mul_f32_e32 v5, v13, v7
	v_fmac_f32_e32 v5, v12, v6
	v_mul_f32_e32 v6, v13, v6
	s_waitcnt lgkmcnt(1)
	v_mul_f32_e32 v13, v9, v35
	v_mul_f32_e32 v9, v9, v34
	v_fmac_f32_e32 v13, v8, v34
	v_fma_f32 v8, v8, v35, -v9
	s_waitcnt lgkmcnt(0)
	v_mul_f32_e32 v9, v11, v29
	v_mul_f32_e32 v11, v11, v28
	v_fma_f32 v6, v12, v7, -v6
	v_mul_f32_e32 v7, v15, v33
	v_mul_f32_e32 v12, v15, v32
	v_fmac_f32_e32 v9, v10, v28
	v_fma_f32 v10, v10, v29, -v11
	v_fmac_f32_e32 v7, v14, v32
	v_fma_f32 v12, v14, v33, -v12
	v_add_f32_e32 v11, v9, v36
	v_add_f32_e32 v14, v10, v2
	v_sub_f32_e32 v2, v2, v10
	v_add_f32_e32 v10, v13, v3
	v_add_f32_e32 v15, v8, v4
	v_sub_f32_e32 v4, v4, v8
	v_add_f32_e32 v8, v5, v7
	v_sub_f32_e32 v5, v7, v5
	;; [unrolled: 2-line block ×5, first 2 shown]
	v_sub_f32_e32 v11, v11, v8
	v_sub_f32_e32 v10, v8, v10
	v_add_f32_e32 v8, v8, v7
	v_sub_f32_e32 v9, v36, v9
	v_sub_f32_e32 v17, v15, v14
	;; [unrolled: 1-line block ×3, first 2 shown]
	v_add_f32_e32 v18, v5, v3
	v_add_f32_e32 v19, v6, v4
	v_sub_f32_e32 v28, v5, v3
	v_sub_f32_e32 v29, v6, v4
	;; [unrolled: 1-line block ×3, first 2 shown]
	v_add_f32_e32 v12, v13, v12
	v_add_f32_e32 v4, v0, v8
	v_sub_f32_e32 v14, v14, v13
	v_sub_f32_e32 v32, v9, v5
	;; [unrolled: 1-line block ×4, first 2 shown]
	v_add_f32_e32 v18, v18, v9
	v_add_f32_e32 v2, v19, v2
	v_add_f32_e32 v5, v1, v12
	v_mul_f32_e32 v0, 0x3f4a47b2, v11
	v_mul_f32_e32 v9, 0x3d64c772, v10
	;; [unrolled: 1-line block ×5, first 2 shown]
	s_mov_b32 s12, 0xbf5ff5aa
	v_mov_b32_e32 v19, v4
	s_mov_b32 s13, 0x3f3bfb3b
	v_mul_f32_e32 v1, 0x3f4a47b2, v14
	v_mul_f32_e32 v13, 0xbf5ff5aa, v3
	;; [unrolled: 1-line block ×3, first 2 shown]
	v_fmac_f32_e32 v19, 0xbf955555, v8
	v_mov_b32_e32 v28, v5
	v_fma_f32 v29, v16, s13, -v9
	v_fma_f32 v35, v17, s13, -v11
	s_mov_b32 s13, 0xbf3bfb3b
	v_fma_f32 v8, v3, s12, -v6
	v_fma_f32 v9, v34, s12, -v7
	s_mov_b32 s12, 0x3eae86e6
	v_fmac_f32_e32 v28, 0xbf955555, v12
	v_fma_f32 v36, v16, s13, -v0
	v_fmac_f32_e32 v0, 0x3d64c772, v10
	v_fma_f32 v17, v17, s13, -v1
	v_fmac_f32_e32 v1, 0x3d64c772, v15
	v_fmac_f32_e32 v6, 0xbeae86e6, v32
	;; [unrolled: 1-line block ×3, first 2 shown]
	v_fma_f32 v11, v32, s12, -v13
	v_fma_f32 v12, v33, s12, -v14
	v_add_f32_e32 v10, v0, v19
	v_add_f32_e32 v13, v1, v28
	;; [unrolled: 1-line block ×6, first 2 shown]
	v_fmac_f32_e32 v6, 0xbee1c552, v18
	v_fmac_f32_e32 v7, 0xbee1c552, v2
	;; [unrolled: 1-line block ×6, first 2 shown]
	v_add_f32_e32 v0, v9, v14
	v_sub_f32_e32 v1, v16, v8
	v_sub_f32_e32 v2, v15, v12
	v_add_f32_e32 v3, v11, v17
	v_sub_f32_e32 v28, v10, v7
	v_add_f32_e32 v29, v6, v13
	s_barrier
	s_and_saveexec_b64 s[12:13], s[0:1]
	s_cbranch_execz .LBB0_25
; %bb.24:
	v_sub_f32_e32 v18, v14, v9
	v_sub_f32_e32 v9, v17, v11
	;; [unrolled: 1-line block ×3, first 2 shown]
	v_mul_u32_u24_e32 v6, 0xf5, v52
	v_add_f32_e32 v10, v7, v10
	v_add_lshl_u32 v6, v6, v53, 3
	v_add_f32_e32 v19, v8, v16
	v_add_f32_e32 v8, v12, v15
	ds_write2_b64 v6, v[4:5], v[10:11] offset1:35
	ds_write2_b64 v6, v[8:9], v[18:19] offset0:70 offset1:105
	ds_write2_b64 v6, v[0:1], v[2:3] offset0:140 offset1:175
	ds_write_b64 v6, v[28:29] offset:1680
.LBB0_25:
	s_or_b64 exec, exec, s[12:13]
	v_add_u32_e32 v12, 0xf00, v49
	s_waitcnt lgkmcnt(0)
	s_barrier
	ds_read2_b64 v[4:7], v49 offset1:245
	ds_read2_b64 v[8:11], v12 offset0:10 offset1:255
	s_and_saveexec_b64 s[12:13], s[2:3]
	s_cbranch_execz .LBB0_27
; %bb.26:
	v_add_u32_e32 v0, 0x600, v49
	v_add_u32_e32 v13, 0x1540, v49
	ds_read2_b64 v[0:3], v0 offset0:4 offset1:249
	ds_read2_b64 v[28:31], v13 offset0:6 offset1:251
.LBB0_27:
	s_or_b64 exec, exec, s[12:13]
	s_waitcnt lgkmcnt(1)
	v_mul_f32_e32 v13, v25, v7
	v_fmac_f32_e32 v13, v24, v6
	v_mul_f32_e32 v6, v25, v6
	v_fma_f32 v6, v24, v7, -v6
	s_waitcnt lgkmcnt(0)
	v_mul_f32_e32 v7, v27, v9
	v_fmac_f32_e32 v7, v26, v8
	v_mul_f32_e32 v8, v27, v8
	v_fma_f32 v8, v26, v9, -v8
	v_mul_f32_e32 v9, v48, v11
	v_fmac_f32_e32 v9, v47, v10
	v_mul_f32_e32 v10, v48, v10
	v_fma_f32 v10, v47, v11, -v10
	v_sub_f32_e32 v11, v4, v7
	v_sub_f32_e32 v14, v5, v8
	;; [unrolled: 1-line block ×4, first 2 shown]
	v_fma_f32 v7, v4, 2.0, -v11
	v_fma_f32 v8, v5, 2.0, -v14
	v_fma_f32 v4, v13, 2.0, -v9
	v_fma_f32 v5, v6, 2.0, -v10
	v_sub_f32_e32 v4, v7, v4
	v_sub_f32_e32 v5, v8, v5
	v_fma_f32 v6, v7, 2.0, -v4
	v_fma_f32 v7, v8, 2.0, -v5
	v_add_f32_e32 v8, v11, v10
	v_sub_f32_e32 v9, v14, v9
	v_fma_f32 v10, v11, 2.0, -v8
	v_fma_f32 v11, v14, 2.0, -v9
	ds_write2_b64 v49, v[6:7], v[10:11] offset1:245
	ds_write2_b64 v12, v[4:5], v[8:9] offset0:10 offset1:255
	s_and_saveexec_b64 s[12:13], s[2:3]
	s_cbranch_execz .LBB0_29
; %bb.28:
	v_mul_f32_e32 v4, v23, v28
	v_fma_f32 v4, v22, v29, -v4
	v_mul_f32_e32 v9, v21, v3
	v_sub_f32_e32 v7, v1, v4
	v_fmac_f32_e32 v9, v20, v2
	v_mul_f32_e32 v4, v46, v31
	v_mul_f32_e32 v2, v21, v2
	v_fmac_f32_e32 v4, v45, v30
	v_mul_f32_e32 v5, v23, v29
	v_fma_f32 v2, v20, v3, -v2
	v_mul_f32_e32 v3, v46, v30
	v_sub_f32_e32 v10, v9, v4
	v_fmac_f32_e32 v5, v22, v28
	v_fma_f32 v3, v45, v31, -v3
	v_sub_f32_e32 v4, v7, v10
	v_sub_f32_e32 v11, v0, v5
	;; [unrolled: 1-line block ×3, first 2 shown]
	v_fma_f32 v6, v7, 2.0, -v4
	v_fma_f32 v7, v1, 2.0, -v7
	;; [unrolled: 1-line block ×5, first 2 shown]
	v_add_f32_e32 v3, v11, v8
	v_sub_f32_e32 v1, v7, v1
	v_sub_f32_e32 v0, v2, v0
	v_fma_f32 v5, v11, 2.0, -v3
	v_fma_f32 v8, v7, 2.0, -v1
	;; [unrolled: 1-line block ×3, first 2 shown]
	v_add_u32_e32 v2, 0x600, v49
	ds_write2_b64 v2, v[7:8], v[5:6] offset0:4 offset1:249
	v_add_u32_e32 v2, 0x1540, v49
	ds_write2_b64 v2, v[0:1], v[3:4] offset0:6 offset1:251
.LBB0_29:
	s_or_b64 exec, exec, s[12:13]
	s_waitcnt lgkmcnt(0)
	s_barrier
	s_and_b64 exec, exec, s[0:1]
	s_cbranch_execz .LBB0_31
; %bb.30:
	global_load_dwordx2 v[8:9], v49, s[10:11]
	global_load_dwordx2 v[10:11], v49, s[10:11] offset:1120
	global_load_dwordx2 v[12:13], v49, s[10:11] offset:2240
	;; [unrolled: 1-line block ×3, first 2 shown]
	v_mov_b32_e32 v0, s11
	v_mad_u64_u32 v[20:21], s[2:3], s4, v50, 0
	v_add_co_u32_e32 v2, vcc, s10, v49
	s_movk_i32 s2, 0x1000
	v_addc_co_u32_e32 v0, vcc, 0, v0, vcc
	v_add_co_u32_e32 v22, vcc, s2, v2
	v_addc_co_u32_e32 v23, vcc, 0, v0, vcc
	global_load_dwordx2 v[24:25], v[22:23], off offset:384
	v_mad_u64_u32 v[18:19], s[0:1], s6, v44, 0
	s_mul_i32 s2, s5, 0x460
	s_mul_hi_u32 s3, s4, 0x460
	s_add_i32 s6, s3, s2
	v_mad_u64_u32 v[26:27], s[2:3], s7, v44, v[19:20]
	v_add_u32_e32 v1, 0x400, v49
	v_add_u32_e32 v4, 0xc00, v49
	v_mad_u64_u32 v[27:28], s[2:3], s5, v50, v[21:22]
	ds_read_b64 v[16:17], v49
	ds_read2_b64 v[0:3], v1 offset0:12 offset1:152
	ds_read2_b64 v[4:7], v4 offset0:36 offset1:176
	global_load_dwordx2 v[28:29], v[22:23], off offset:1504
	global_load_dwordx2 v[30:31], v[22:23], off offset:2624
	v_mov_b32_e32 v19, v26
	v_mov_b32_e32 v21, v27
	s_mov_b32 s0, 0xec259dc8
	s_mov_b32 s1, 0x3f50b7e6
	v_lshlrev_b64 v[18:19], 3, v[18:19]
	v_mov_b32_e32 v32, s9
	v_lshlrev_b64 v[20:21], 3, v[20:21]
	v_add_co_u32_e32 v18, vcc, s8, v18
	v_addc_co_u32_e32 v19, vcc, v32, v19, vcc
	v_add_co_u32_e32 v18, vcc, v18, v20
	s_mulk_i32 s4, 0x460
	v_addc_co_u32_e32 v19, vcc, v19, v21, vcc
	v_mov_b32_e32 v33, s6
	v_add_co_u32_e32 v20, vcc, s4, v18
	v_addc_co_u32_e32 v21, vcc, v19, v33, vcc
	v_mov_b32_e32 v34, s6
	s_waitcnt vmcnt(6) lgkmcnt(2)
	v_mul_f32_e32 v22, v17, v9
	v_mul_f32_e32 v9, v16, v9
	s_waitcnt vmcnt(5) lgkmcnt(1)
	v_mul_f32_e32 v23, v1, v11
	v_mul_f32_e32 v11, v0, v11
	s_waitcnt vmcnt(4)
	v_mul_f32_e32 v26, v3, v13
	v_mul_f32_e32 v13, v2, v13
	v_fmac_f32_e32 v22, v16, v8
	v_fma_f32 v8, v8, v17, -v9
	s_waitcnt vmcnt(3) lgkmcnt(0)
	v_mul_f32_e32 v27, v5, v15
	v_mul_f32_e32 v15, v4, v15
	v_fmac_f32_e32 v23, v0, v10
	v_fma_f32 v9, v10, v1, -v11
	v_fmac_f32_e32 v26, v2, v12
	v_fma_f32 v12, v12, v3, -v13
	v_cvt_f64_f32_e32 v[0:1], v22
	v_cvt_f64_f32_e32 v[2:3], v8
	v_fmac_f32_e32 v27, v4, v14
	v_fma_f32 v16, v14, v5, -v15
	v_cvt_f64_f32_e32 v[4:5], v23
	v_cvt_f64_f32_e32 v[8:9], v9
	v_cvt_f64_f32_e32 v[10:11], v26
	v_cvt_f64_f32_e32 v[12:13], v12
	v_mul_f64 v[0:1], v[0:1], s[0:1]
	v_mul_f64 v[2:3], v[2:3], s[0:1]
	;; [unrolled: 1-line block ×6, first 2 shown]
	v_cvt_f64_f32_e32 v[16:17], v16
	v_cvt_f64_f32_e32 v[14:15], v27
	v_cvt_f32_f64_e32 v0, v[0:1]
	v_cvt_f32_f64_e32 v1, v[2:3]
	;; [unrolled: 1-line block ×6, first 2 shown]
	global_store_dwordx2 v[18:19], v[0:1], off
	global_store_dwordx2 v[20:21], v[2:3], off
	v_add_co_u32_e32 v0, vcc, s4, v20
	v_addc_co_u32_e32 v1, vcc, v21, v34, vcc
	global_store_dwordx2 v[0:1], v[4:5], off
	s_waitcnt vmcnt(5)
	v_mul_f32_e32 v5, v7, v25
	v_fmac_f32_e32 v5, v6, v24
	v_mul_f64 v[2:3], v[16:17], s[0:1]
	v_cvt_f64_f32_e32 v[8:9], v5
	v_mul_f32_e32 v5, v6, v25
	v_fma_f32 v5, v24, v7, -v5
	v_mul_f64 v[14:15], v[14:15], s[0:1]
	v_cvt_f64_f32_e32 v[6:7], v5
	v_add_co_u32_e32 v10, vcc, s4, v0
	v_cvt_f32_f64_e32 v5, v[2:3]
	v_mul_f64 v[6:7], v[6:7], s[0:1]
	v_mov_b32_e32 v2, s6
	v_add_u32_e32 v0, 0x1400, v49
	v_mul_f64 v[8:9], v[8:9], s[0:1]
	v_addc_co_u32_e32 v11, vcc, v1, v2, vcc
	ds_read2_b64 v[0:3], v0 offset0:60 offset1:200
	v_cvt_f32_f64_e32 v4, v[14:15]
	global_store_dwordx2 v[10:11], v[4:5], off
	v_cvt_f32_f64_e32 v5, v[6:7]
	s_waitcnt vmcnt(5) lgkmcnt(0)
	v_mul_f32_e32 v6, v1, v29
	v_fmac_f32_e32 v6, v0, v28
	v_mul_f32_e32 v0, v0, v29
	v_fma_f32 v0, v28, v1, -v0
	v_cvt_f32_f64_e32 v4, v[8:9]
	v_cvt_f64_f32_e32 v[6:7], v6
	v_cvt_f64_f32_e32 v[0:1], v0
	v_mov_b32_e32 v9, s6
	v_add_co_u32_e32 v8, vcc, s4, v10
	v_addc_co_u32_e32 v9, vcc, v11, v9, vcc
	global_store_dwordx2 v[8:9], v[4:5], off
	v_mul_f64 v[4:5], v[6:7], s[0:1]
	v_mul_f64 v[0:1], v[0:1], s[0:1]
	s_waitcnt vmcnt(5)
	v_mul_f32_e32 v6, v3, v31
	v_fmac_f32_e32 v6, v2, v30
	v_mul_f32_e32 v2, v2, v31
	v_fma_f32 v2, v30, v3, -v2
	v_cvt_f64_f32_e32 v[6:7], v6
	v_cvt_f64_f32_e32 v[2:3], v2
	v_cvt_f32_f64_e32 v4, v[4:5]
	v_cvt_f32_f64_e32 v5, v[0:1]
	v_mul_f64 v[0:1], v[6:7], s[0:1]
	v_mul_f64 v[2:3], v[2:3], s[0:1]
	v_mov_b32_e32 v7, s6
	v_add_co_u32_e32 v6, vcc, s4, v8
	v_addc_co_u32_e32 v7, vcc, v9, v7, vcc
	global_store_dwordx2 v[6:7], v[4:5], off
	v_cvt_f32_f64_e32 v0, v[0:1]
	v_cvt_f32_f64_e32 v1, v[2:3]
	v_mov_b32_e32 v3, s6
	v_add_co_u32_e32 v2, vcc, s4, v6
	v_addc_co_u32_e32 v3, vcc, v7, v3, vcc
	global_store_dwordx2 v[2:3], v[0:1], off
.LBB0_31:
	s_endpgm
	.section	.rodata,"a",@progbits
	.p2align	6, 0x0
	.amdhsa_kernel bluestein_single_fwd_len980_dim1_sp_op_CI_CI
		.amdhsa_group_segment_fixed_size 7840
		.amdhsa_private_segment_fixed_size 0
		.amdhsa_kernarg_size 104
		.amdhsa_user_sgpr_count 6
		.amdhsa_user_sgpr_private_segment_buffer 1
		.amdhsa_user_sgpr_dispatch_ptr 0
		.amdhsa_user_sgpr_queue_ptr 0
		.amdhsa_user_sgpr_kernarg_segment_ptr 1
		.amdhsa_user_sgpr_dispatch_id 0
		.amdhsa_user_sgpr_flat_scratch_init 0
		.amdhsa_user_sgpr_private_segment_size 0
		.amdhsa_uses_dynamic_stack 0
		.amdhsa_system_sgpr_private_segment_wavefront_offset 0
		.amdhsa_system_sgpr_workgroup_id_x 1
		.amdhsa_system_sgpr_workgroup_id_y 0
		.amdhsa_system_sgpr_workgroup_id_z 0
		.amdhsa_system_sgpr_workgroup_info 0
		.amdhsa_system_vgpr_workitem_id 0
		.amdhsa_next_free_vgpr 68
		.amdhsa_next_free_sgpr 18
		.amdhsa_reserve_vcc 1
		.amdhsa_reserve_flat_scratch 0
		.amdhsa_float_round_mode_32 0
		.amdhsa_float_round_mode_16_64 0
		.amdhsa_float_denorm_mode_32 3
		.amdhsa_float_denorm_mode_16_64 3
		.amdhsa_dx10_clamp 1
		.amdhsa_ieee_mode 1
		.amdhsa_fp16_overflow 0
		.amdhsa_exception_fp_ieee_invalid_op 0
		.amdhsa_exception_fp_denorm_src 0
		.amdhsa_exception_fp_ieee_div_zero 0
		.amdhsa_exception_fp_ieee_overflow 0
		.amdhsa_exception_fp_ieee_underflow 0
		.amdhsa_exception_fp_ieee_inexact 0
		.amdhsa_exception_int_div_zero 0
	.end_amdhsa_kernel
	.text
.Lfunc_end0:
	.size	bluestein_single_fwd_len980_dim1_sp_op_CI_CI, .Lfunc_end0-bluestein_single_fwd_len980_dim1_sp_op_CI_CI
                                        ; -- End function
	.section	.AMDGPU.csdata,"",@progbits
; Kernel info:
; codeLenInByte = 6732
; NumSgprs: 22
; NumVgprs: 68
; ScratchSize: 0
; MemoryBound: 0
; FloatMode: 240
; IeeeMode: 1
; LDSByteSize: 7840 bytes/workgroup (compile time only)
; SGPRBlocks: 2
; VGPRBlocks: 16
; NumSGPRsForWavesPerEU: 22
; NumVGPRsForWavesPerEU: 68
; Occupancy: 3
; WaveLimiterHint : 1
; COMPUTE_PGM_RSRC2:SCRATCH_EN: 0
; COMPUTE_PGM_RSRC2:USER_SGPR: 6
; COMPUTE_PGM_RSRC2:TRAP_HANDLER: 0
; COMPUTE_PGM_RSRC2:TGID_X_EN: 1
; COMPUTE_PGM_RSRC2:TGID_Y_EN: 0
; COMPUTE_PGM_RSRC2:TGID_Z_EN: 0
; COMPUTE_PGM_RSRC2:TIDIG_COMP_CNT: 0
	.type	__hip_cuid_ea7509d424aa970a,@object ; @__hip_cuid_ea7509d424aa970a
	.section	.bss,"aw",@nobits
	.globl	__hip_cuid_ea7509d424aa970a
__hip_cuid_ea7509d424aa970a:
	.byte	0                               ; 0x0
	.size	__hip_cuid_ea7509d424aa970a, 1

	.ident	"AMD clang version 19.0.0git (https://github.com/RadeonOpenCompute/llvm-project roc-6.4.0 25133 c7fe45cf4b819c5991fe208aaa96edf142730f1d)"
	.section	".note.GNU-stack","",@progbits
	.addrsig
	.addrsig_sym __hip_cuid_ea7509d424aa970a
	.amdgpu_metadata
---
amdhsa.kernels:
  - .args:
      - .actual_access:  read_only
        .address_space:  global
        .offset:         0
        .size:           8
        .value_kind:     global_buffer
      - .actual_access:  read_only
        .address_space:  global
        .offset:         8
        .size:           8
        .value_kind:     global_buffer
      - .actual_access:  read_only
        .address_space:  global
        .offset:         16
        .size:           8
        .value_kind:     global_buffer
      - .actual_access:  read_only
        .address_space:  global
        .offset:         24
        .size:           8
        .value_kind:     global_buffer
      - .actual_access:  read_only
        .address_space:  global
        .offset:         32
        .size:           8
        .value_kind:     global_buffer
      - .offset:         40
        .size:           8
        .value_kind:     by_value
      - .address_space:  global
        .offset:         48
        .size:           8
        .value_kind:     global_buffer
      - .address_space:  global
        .offset:         56
        .size:           8
        .value_kind:     global_buffer
      - .address_space:  global
        .offset:         64
        .size:           8
        .value_kind:     global_buffer
      - .address_space:  global
        .offset:         72
        .size:           8
        .value_kind:     global_buffer
      - .offset:         80
        .size:           4
        .value_kind:     by_value
      - .address_space:  global
        .offset:         88
        .size:           8
        .value_kind:     global_buffer
      - .address_space:  global
        .offset:         96
        .size:           8
        .value_kind:     global_buffer
    .group_segment_fixed_size: 7840
    .kernarg_segment_align: 8
    .kernarg_segment_size: 104
    .language:       OpenCL C
    .language_version:
      - 2
      - 0
    .max_flat_workgroup_size: 196
    .name:           bluestein_single_fwd_len980_dim1_sp_op_CI_CI
    .private_segment_fixed_size: 0
    .sgpr_count:     22
    .sgpr_spill_count: 0
    .symbol:         bluestein_single_fwd_len980_dim1_sp_op_CI_CI.kd
    .uniform_work_group_size: 1
    .uses_dynamic_stack: false
    .vgpr_count:     68
    .vgpr_spill_count: 0
    .wavefront_size: 64
amdhsa.target:   amdgcn-amd-amdhsa--gfx906
amdhsa.version:
  - 1
  - 2
...

	.end_amdgpu_metadata
